;; amdgpu-corpus repo=ROCm/rocFFT kind=compiled arch=gfx1030 opt=O3
	.text
	.amdgcn_target "amdgcn-amd-amdhsa--gfx1030"
	.amdhsa_code_object_version 6
	.protected	fft_rtc_back_len17_factors_17_wgs_120_tpt_1_sp_op_CI_CI_sbrc_z_xy_diag_dirReg ; -- Begin function fft_rtc_back_len17_factors_17_wgs_120_tpt_1_sp_op_CI_CI_sbrc_z_xy_diag_dirReg
	.globl	fft_rtc_back_len17_factors_17_wgs_120_tpt_1_sp_op_CI_CI_sbrc_z_xy_diag_dirReg
	.p2align	8
	.type	fft_rtc_back_len17_factors_17_wgs_120_tpt_1_sp_op_CI_CI_sbrc_z_xy_diag_dirReg,@function
fft_rtc_back_len17_factors_17_wgs_120_tpt_1_sp_op_CI_CI_sbrc_z_xy_diag_dirReg: ; @fft_rtc_back_len17_factors_17_wgs_120_tpt_1_sp_op_CI_CI_sbrc_z_xy_diag_dirReg
; %bb.0:
	s_clause 0x1
	s_load_dwordx8 s[8:15], s[4:5], 0x8
	s_load_dwordx4 s[0:3], s[4:5], 0x58
	v_mov_b32_e32 v19, 0xf10
	v_mul_u32_u24_e32 v1, 0xf10, v0
	v_add_nc_u16 v2, v0, 0x78
	v_add_nc_u16 v3, v0, 0xf0
	;; [unrolled: 1-line block ×4, first 2 shown]
	v_lshrrev_b32_e32 v20, 16, v1
	v_mul_u32_u24_sdwa v1, v2, v19 dst_sel:DWORD dst_unused:UNUSED_PAD src0_sel:WORD_0 src1_sel:DWORD
	v_mul_u32_u24_sdwa v9, v3, v19 dst_sel:DWORD dst_unused:UNUSED_PAD src0_sel:WORD_0 src1_sel:DWORD
	;; [unrolled: 1-line block ×4, first 2 shown]
	v_mul_lo_u16 v14, v20, 17
	v_lshrrev_b32_e32 v21, 16, v1
	v_lshrrev_b32_e32 v22, 16, v9
	v_lshrrev_b32_e32 v26, 16, v13
	v_add_nc_u16 v4, v0, 0x168
	v_lshrrev_b32_e32 v25, 16, v12
	v_sub_nc_u16 v27, v0, v14
	s_waitcnt lgkmcnt(0)
	s_load_dwordx4 s[16:19], s[10:11], 0x8
	s_load_dword s10, s[12:13], 0x10
	v_mul_lo_u16 v9, v22, 17
	v_mul_lo_u16 v12, v26, 17
	v_add_nc_u16 v5, v0, 0x1e0
	v_mul_u32_u24_sdwa v10, v4, v19 dst_sel:DWORD dst_unused:UNUSED_PAD src0_sel:WORD_0 src1_sel:DWORD
	v_and_b32_e32 v17, 0xffff, v27
	v_sub_nc_u16 v29, v3, v9
	v_sub_nc_u16 v37, v8, v12
	v_mul_u32_u24_sdwa v11, v5, v19 dst_sel:DWORD dst_unused:UNUSED_PAD src0_sel:WORD_0 src1_sel:DWORD
	v_lshrrev_b32_e32 v23, 16, v10
	v_mov_b32_e32 v32, 0
	v_and_b32_e32 v36, 0xffff, v29
	s_mov_b32 s11, 0
	v_lshrrev_b32_e32 v24, 16, v11
	v_mul_lo_u16 v10, v23, 17
	v_add_nc_u16 v51, v0, 0x708
	v_or_b32_e32 v53, 0x780, v0
	v_mul_lo_u16 v11, v24, 17
	s_waitcnt lgkmcnt(0)
	s_add_i32 s4, s16, -1
	v_sub_nc_u16 v30, v4, v10
	s_mul_hi_u32 s4, s4, 0x88888889
	v_sub_nc_u16 v33, v5, v11
	s_lshr_b32 s4, s4, 6
	v_and_b32_e32 v40, 0xffff, v30
	s_add_i32 s4, s4, 1
	s_mul_i32 s4, s4, s18
	v_and_b32_e32 v41, 0xffff, v33
	v_cvt_f32_u32_e32 v6, s4
	s_sub_i32 s7, 0, s4
	v_rcp_iflag_f32_e32 v6, v6
	v_mul_f32_e32 v1, 0x4f7ffffe, v6
	v_mul_lo_u16 v6, v21, 17
	v_cvt_u32_f32_e32 v1, v1
	v_sub_nc_u16 v28, v2, v6
	v_readfirstlane_b32 s5, v1
	v_and_b32_e32 v12, 0xffff, v28
	v_mul_lo_u16 v1, v25, 17
	s_mul_i32 s7, s7, s5
	s_mul_hi_u32 s7, s5, s7
	v_sub_nc_u16 v34, v7, v1
	s_add_i32 s5, s5, s7
	s_mul_hi_u32 s5, s6, s5
	s_mul_i32 s7, s5, s4
	s_add_i32 s16, s5, 1
	s_sub_i32 s7, s6, s7
	v_and_b32_e32 v35, 0xffff, v34
	s_sub_i32 s17, s7, s4
	s_cmp_ge_u32 s7, s4
	s_cselect_b32 s5, s16, s5
	s_cselect_b32 s7, s17, s7
	s_add_i32 s20, s5, 1
	s_cmp_ge_u32 s7, s4
	s_load_dwordx4 s[16:19], s[12:13], 0x0
	s_waitcnt lgkmcnt(0)
	s_cselect_b32 s19, s20, s5
	s_mul_i32 s4, s19, s4
	s_sub_i32 s6, s6, s4
	s_mul_hi_u32 s4, s6, 0xf0f0f0f1
	s_lshr_b32 s4, s4, 4
	s_mul_i32 s7, s4, 17
	s_lshl_b64 s[4:5], s[8:9], 3
	s_sub_i32 s20, s6, s7
	s_add_u32 s6, s12, s4
	s_addc_u32 s7, s13, s5
	s_load_dwordx2 s[6:7], s[6:7], 0x0
	s_mul_i32 s10, s20, s10
	v_mad_u64_u32 v[13:14], null, s16, v17, 0
	v_mad_u64_u32 v[15:16], null, s16, v12, 0
	;; [unrolled: 1-line block ×3, first 2 shown]
	v_mul_lo_u32 v31, s18, v20
	v_mad_u64_u32 v[7:8], null, s16, v40, 0
	v_mov_b32_e32 v9, v14
	v_mov_b32_e32 v10, v16
	v_mad_u64_u32 v[3:4], null, s16, v41, 0
	v_mov_b32_e32 v11, v39
	v_lshlrev_b64 v[5:6], 3, v[31:32]
	v_mad_u64_u32 v[16:17], null, s17, v17, v[9:10]
	s_waitcnt lgkmcnt(0)
	s_mul_i32 s7, s7, s19
	s_mul_hi_u32 s8, s6, s19
	v_mad_u64_u32 v[17:18], null, s17, v12, v[10:11]
	s_add_i32 s7, s8, s7
	s_add_u32 s4, s14, s4
	s_addc_u32 s5, s15, s5
	v_mul_lo_u32 v31, s18, v21
	s_load_dwordx2 s[8:9], s[4:5], 0x0
	v_mad_u64_u32 v[11:12], null, s17, v36, v[11:12]
	s_mul_i32 s6, s6, s19
	v_mov_b32_e32 v14, v16
	s_lshl_b64 s[12:13], s[6:7], 3
	s_load_dwordx4 s[4:7], s[14:15], 0x0
	v_mad_u64_u32 v[8:9], null, s17, v40, v[8:9]
	v_mov_b32_e32 v16, v17
	v_lshlrev_b64 v[9:10], 3, v[31:32]
	v_mul_lo_u32 v31, s18, v22
	v_lshlrev_b64 v[17:18], 3, v[13:14]
	v_mov_b32_e32 v39, v11
	v_lshlrev_b64 v[15:16], 3, v[15:16]
	v_lshlrev_b64 v[7:8], 3, v[7:8]
	v_mad_u64_u32 v[40:41], null, s17, v41, v[4:5]
	v_lshlrev_b64 v[13:14], 3, v[38:39]
	v_lshlrev_b64 v[11:12], 3, v[31:32]
	s_waitcnt lgkmcnt(0)
	s_mul_i32 s7, s9, s19
	s_mul_hi_u32 s9, s8, s19
	v_mul_lo_u32 v31, s18, v23
	s_add_i32 s7, s9, s7
	s_add_u32 s9, s0, s12
	s_addc_u32 s12, s1, s13
	s_lshl_b64 s[0:1], s[10:11], 3
	v_mov_b32_e32 v4, v40
	s_add_u32 s0, s9, s0
	s_addc_u32 s1, s12, s1
	v_add_co_u32 v17, vcc_lo, s0, v17
	v_add_co_ci_u32_e32 v18, vcc_lo, s1, v18, vcc_lo
	v_add_co_u32 v15, vcc_lo, s0, v15
	v_add_co_ci_u32_e32 v16, vcc_lo, s1, v16, vcc_lo
	;; [unrolled: 2-line block ×3, first 2 shown]
	v_lshlrev_b64 v[38:39], 3, v[31:32]
	v_add_co_u32 v31, vcc_lo, s0, v7
	v_add_co_ci_u32_e32 v36, vcc_lo, s1, v8, vcc_lo
	v_add_co_u32 v5, vcc_lo, v17, v5
	v_add_co_ci_u32_e32 v6, vcc_lo, v18, v6, vcc_lo
	v_add_co_u32 v7, vcc_lo, v15, v9
	v_mad_u64_u32 v[1:2], null, s16, v35, 0
	v_add_co_ci_u32_e32 v8, vcc_lo, v16, v10, vcc_lo
	v_add_co_u32 v9, vcc_lo, v13, v11
	v_lshlrev_b64 v[3:4], 3, v[3:4]
	v_add_co_ci_u32_e32 v10, vcc_lo, v14, v12, vcc_lo
	v_add_nc_u16 v16, v0, 0x348
	v_add_co_u32 v11, vcc_lo, v31, v38
	v_mul_lo_u32 v31, s18, v24
	v_and_b32_e32 v17, 0xffff, v37
	v_mad_u64_u32 v[13:14], null, s17, v35, v[2:3]
	v_mul_u32_u24_sdwa v2, v16, v19 dst_sel:DWORD dst_unused:UNUSED_PAD src0_sel:WORD_0 src1_sel:DWORD
	v_add_co_ci_u32_e32 v12, vcc_lo, v36, v39, vcc_lo
	v_add_co_u32 v18, vcc_lo, s0, v3
	v_mad_u64_u32 v[14:15], null, s16, v17, 0
	v_add_co_ci_u32_e32 v35, vcc_lo, s1, v4, vcc_lo
	v_lshlrev_b64 v[3:4], 3, v[31:32]
	v_lshrrev_b32_e32 v55, 16, v2
	v_mov_b32_e32 v2, v13
	v_mul_lo_u32 v31, s18, v25
	v_mov_b32_e32 v13, v15
	v_add_nc_u16 v40, v0, 0x438
	v_mul_lo_u16 v36, v55, 17
	v_add_co_u32 v3, vcc_lo, v18, v3
	v_add_nc_u16 v18, v0, 0x3c0
	v_lshlrev_b64 v[1:2], 3, v[1:2]
	v_sub_nc_u16 v56, v16, v36
	v_mad_u64_u32 v[15:16], null, s17, v17, v[13:14]
	v_mul_u32_u24_sdwa v13, v18, v19 dst_sel:DWORD dst_unused:UNUSED_PAD src0_sel:WORD_0 src1_sel:DWORD
	v_add_co_ci_u32_e32 v4, vcc_lo, v35, v4, vcc_lo
	v_lshlrev_b64 v[16:17], 3, v[31:32]
	v_add_co_u32 v31, vcc_lo, s0, v1
	v_add_co_ci_u32_e32 v36, vcc_lo, s1, v2, vcc_lo
	v_lshrrev_b32_e32 v57, 16, v13
	v_add_co_u32 v16, vcc_lo, v31, v16
	v_and_b32_e32 v35, 0xffff, v56
	v_add_co_ci_u32_e32 v17, vcc_lo, v36, v17, vcc_lo
	v_mul_lo_u16 v36, v57, 17
	v_lshlrev_b64 v[13:14], 3, v[14:15]
	v_mul_u32_u24_sdwa v15, v40, v19 dst_sel:DWORD dst_unused:UNUSED_PAD src0_sel:WORD_0 src1_sel:DWORD
	v_mad_u64_u32 v[1:2], null, s16, v35, 0
	v_sub_nc_u16 v58, v18, v36
	v_add_nc_u16 v18, v0, 0x4b0
	v_mul_lo_u32 v31, s18, v26
	v_lshrrev_b32_e32 v59, 16, v15
	v_add_co_u32 v15, vcc_lo, s0, v13
	v_and_b32_e32 v41, 0xffff, v58
	v_mad_u64_u32 v[35:36], null, s17, v35, v[2:3]
	v_mul_u32_u24_sdwa v43, v18, v19 dst_sel:DWORD dst_unused:UNUSED_PAD src0_sel:WORD_0 src1_sel:DWORD
	v_mul_lo_u16 v42, v59, 17
	v_mad_u64_u32 v[38:39], null, s16, v41, 0
	v_add_co_ci_u32_e32 v36, vcc_lo, s1, v14, vcc_lo
	v_lshlrev_b64 v[13:14], 3, v[31:32]
	v_lshrrev_b32_e32 v61, 16, v43
	v_sub_nc_u16 v60, v40, v42
	v_mov_b32_e32 v2, v35
	v_mul_lo_u32 v31, s18, v55
	s_mul_i32 s10, s20, s6
	v_add_co_u32 v13, vcc_lo, v15, v13
	v_mov_b32_e32 v15, v39
	v_mul_lo_u16 v39, v61, 17
	v_and_b32_e32 v44, 0xffff, v60
	v_lshlrev_b64 v[1:2], 3, v[1:2]
	v_add_co_ci_u32_e32 v14, vcc_lo, v36, v14, vcc_lo
	v_sub_nc_u16 v62, v18, v39
	v_mad_u64_u32 v[42:43], null, s16, v44, 0
	v_mad_u64_u32 v[35:36], null, s17, v41, v[15:16]
	v_lshlrev_b64 v[40:41], 3, v[31:32]
	v_add_co_u32 v15, vcc_lo, s0, v1
	v_and_b32_e32 v18, 0xffff, v62
	v_mul_lo_u32 v31, s18, v57
	v_add_co_ci_u32_e32 v2, vcc_lo, s1, v2, vcc_lo
	v_mov_b32_e32 v1, v43
	v_add_co_u32 v40, vcc_lo, v15, v40
	v_add_nc_u16 v15, v0, 0x528
	v_mov_b32_e32 v39, v35
	v_mad_u64_u32 v[35:36], null, s16, v18, 0
	v_add_co_ci_u32_e32 v41, vcc_lo, v2, v41, vcc_lo
	v_mad_u64_u32 v[1:2], null, s17, v44, v[1:2]
	v_lshlrev_b64 v[44:45], 3, v[31:32]
	v_mul_u32_u24_sdwa v31, v15, v19 dst_sel:DWORD dst_unused:UNUSED_PAD src0_sel:WORD_0 src1_sel:DWORD
	v_mov_b32_e32 v2, v36
	v_lshlrev_b64 v[38:39], 3, v[38:39]
	s_mul_i32 s6, s8, s19
	v_lshrrev_b32_e32 v63, 16, v31
	v_mov_b32_e32 v43, v1
	v_mad_u64_u32 v[1:2], null, s17, v18, v[2:3]
	v_add_nc_u16 v18, v0, 0x5a0
	v_mul_lo_u16 v2, v63, 17
	v_add_co_u32 v36, vcc_lo, s0, v38
	v_add_co_ci_u32_e32 v39, vcc_lo, s1, v39, vcc_lo
	v_sub_nc_u16 v64, v15, v2
	v_mul_u32_u24_sdwa v15, v18, v19 dst_sel:DWORD dst_unused:UNUSED_PAD src0_sel:WORD_0 src1_sel:DWORD
	v_lshlrev_b64 v[42:43], 3, v[42:43]
	v_mul_lo_u32 v31, s18, v59
	v_add_co_u32 v38, vcc_lo, v36, v44
	v_and_b32_e32 v46, 0xffff, v64
	v_lshrrev_b32_e32 v65, 16, v15
	v_add_co_ci_u32_e32 v39, vcc_lo, v39, v45, vcc_lo
	v_add_co_u32 v15, vcc_lo, s0, v42
	v_add_co_ci_u32_e32 v44, vcc_lo, s1, v43, vcc_lo
	v_mad_u64_u32 v[42:43], null, s16, v46, 0
	v_mul_lo_u16 v45, v65, 17
	v_mov_b32_e32 v36, v1
	v_lshlrev_b64 v[1:2], 3, v[31:32]
	v_mul_lo_u32 v31, s18, v61
	s_lshl_b64 s[6:7], s[6:7], 3
	v_sub_nc_u16 v66, v18, v45
	v_add_nc_u16 v18, v0, 0x618
	v_lshlrev_b64 v[35:36], 3, v[35:36]
	v_add_co_u32 v1, vcc_lo, v15, v1
	v_mov_b32_e32 v15, v43
	v_add_co_ci_u32_e32 v2, vcc_lo, v44, v2, vcc_lo
	v_lshlrev_b64 v[44:45], 3, v[31:32]
	v_mul_u32_u24_sdwa v31, v18, v19 dst_sel:DWORD dst_unused:UNUSED_PAD src0_sel:WORD_0 src1_sel:DWORD
	v_mad_u64_u32 v[46:47], null, s17, v46, v[15:16]
	v_and_b32_e32 v49, 0xffff, v66
	v_add_co_u32 v15, vcc_lo, s0, v35
	v_lshrrev_b32_e32 v67, 16, v31
	v_add_co_ci_u32_e32 v31, vcc_lo, s1, v36, vcc_lo
	v_mov_b32_e32 v43, v46
	v_mad_u64_u32 v[47:48], null, s16, v49, 0
	v_mul_lo_u16 v46, v67, 17
	v_add_co_u32 v35, vcc_lo, v15, v44
	v_add_co_ci_u32_e32 v36, vcc_lo, v31, v45, vcc_lo
	v_sub_nc_u16 v68, v18, v46
	v_mov_b32_e32 v15, v48
	v_lshlrev_b64 v[42:43], 3, v[42:43]
	v_mul_lo_u32 v31, s18, v63
	v_and_b32_e32 v18, 0xffff, v68
	v_mad_u64_u32 v[44:45], null, s17, v49, v[15:16]
	v_add_co_u32 v15, vcc_lo, s0, v42
	v_mad_u64_u32 v[45:46], null, s16, v18, 0
	v_add_co_ci_u32_e32 v49, vcc_lo, s1, v43, vcc_lo
	v_lshlrev_b64 v[42:43], 3, v[31:32]
	v_mov_b32_e32 v48, v44
	v_add_nc_u16 v44, v0, 0x690
	v_mul_lo_u32 v31, s18, v65
	v_add_co_u32 v42, vcc_lo, v15, v42
	v_mov_b32_e32 v15, v46
	v_add_co_ci_u32_e32 v43, vcc_lo, v49, v43, vcc_lo
	v_mul_u32_u24_sdwa v46, v44, v19 dst_sel:DWORD dst_unused:UNUSED_PAD src0_sel:WORD_0 src1_sel:DWORD
	v_lshlrev_b64 v[47:48], 3, v[47:48]
	v_mad_u64_u32 v[49:50], null, s17, v18, v[15:16]
	v_mul_u32_u24_sdwa v15, v51, v19 dst_sel:DWORD dst_unused:UNUSED_PAD src0_sel:WORD_0 src1_sel:DWORD
	v_lshrrev_b32_e32 v69, 16, v46
	v_add_co_u32 v18, vcc_lo, s0, v47
	v_lshrrev_b32_e32 v70, 16, v15
	v_mul_lo_u16 v52, v69, 17
	v_add_co_ci_u32_e32 v50, vcc_lo, s1, v48, vcc_lo
	v_lshlrev_b64 v[47:48], 3, v[31:32]
	v_mul_lo_u16 v15, v70, 17
	v_mov_b32_e32 v46, v49
	v_sub_nc_u16 v71, v44, v52
	v_mul_lo_u32 v31, s18, v67
	v_sub_nc_u16 v72, v51, v15
	v_mul_u32_u24_sdwa v15, v53, v19 dst_sel:DWORD dst_unused:UNUSED_PAD src0_sel:WORD_0 src1_sel:DWORD
	v_add_co_u32 v47, vcc_lo, v18, v47
	v_lshlrev_b64 v[18:19], 3, v[45:46]
	v_and_b32_e32 v46, 0xffff, v71
	v_lshrrev_b32_e32 v73, 16, v15
	v_and_b32_e32 v54, 0xffff, v72
	v_lshlrev_b64 v[44:45], 3, v[31:32]
	v_add_co_ci_u32_e32 v48, vcc_lo, v50, v48, vcc_lo
	v_mul_lo_u16 v31, v73, 17
	v_mad_u64_u32 v[49:50], null, s16, v46, 0
	v_mad_u64_u32 v[51:52], null, s16, v54, 0
	v_sub_nc_u16 v74, v53, v31
	v_add_co_u32 v18, vcc_lo, s0, v18
	v_add_co_ci_u32_e32 v19, vcc_lo, s1, v19, vcc_lo
	v_mov_b32_e32 v15, v50
	v_mov_b32_e32 v31, v52
	v_and_b32_e32 v75, 0xffff, v74
	v_add_co_u32 v18, vcc_lo, v18, v44
	v_add_co_ci_u32_e32 v19, vcc_lo, v19, v45, vcc_lo
	v_mad_u64_u32 v[44:45], null, s17, v46, v[15:16]
	v_mad_u64_u32 v[45:46], null, s17, v54, v[31:32]
	;; [unrolled: 1-line block ×3, first 2 shown]
	v_mul_lo_u32 v31, s18, v69
	v_mov_b32_e32 v50, v44
	v_mov_b32_e32 v52, v45
	;; [unrolled: 1-line block ×3, first 2 shown]
	v_lshlrev_b64 v[49:50], 3, v[49:50]
	v_mad_u64_u32 v[44:45], null, s17, v75, v[15:16]
	v_lshlrev_b64 v[45:46], 3, v[31:32]
	v_mul_lo_u32 v31, s18, v70
	v_add_co_u32 v15, vcc_lo, s0, v49
	v_add_co_ci_u32_e32 v75, vcc_lo, s1, v50, vcc_lo
	v_mov_b32_e32 v54, v44
	v_lshlrev_b64 v[49:50], 3, v[51:52]
	v_add_co_u32 v44, vcc_lo, v15, v45
	v_lshlrev_b64 v[51:52], 3, v[31:32]
	v_mul_lo_u32 v31, s18, v73
	v_lshlrev_b64 v[53:54], 3, v[53:54]
	v_add_co_ci_u32_e32 v45, vcc_lo, v75, v46, vcc_lo
	v_add_co_u32 v15, vcc_lo, s0, v49
	v_add_co_ci_u32_e32 v46, vcc_lo, s1, v50, vcc_lo
	v_add_co_u32 v53, vcc_lo, s0, v53
	v_lshlrev_b64 v[49:50], 3, v[31:32]
	v_add_co_ci_u32_e32 v54, vcc_lo, s1, v54, vcc_lo
	v_add_co_u32 v51, vcc_lo, v15, v51
	v_add_co_ci_u32_e32 v52, vcc_lo, v46, v52, vcc_lo
	v_add_co_u32 v49, vcc_lo, v53, v49
	v_add_co_ci_u32_e32 v50, vcc_lo, v54, v50, vcc_lo
	s_clause 0x10
	global_load_dwordx2 v[5:6], v[5:6], off
	global_load_dwordx2 v[7:8], v[7:8], off
	;; [unrolled: 1-line block ×17, first 2 shown]
	v_mul_u32_u24_e32 v19, 0x223, v0
	v_mad_u16 v31, 0x78, v66, v65
	v_mad_u16 v50, 0x78, v72, v70
	s_load_dword s0, s[14:15], 0x10
	v_lshrrev_b32_e32 v35, 16, v19
	v_and_b32_e32 v31, 0xffff, v31
	v_mul_lo_u16 v19, 0x78, v35
	v_lshl_add_u32 v31, v31, 3, 0
	v_sub_nc_u16 v0, v0, v19
	v_mul_lo_u16 v19, 0x78, v27
	v_mul_u32_u24_e32 v27, 0x3c0, v35
	v_mul_u32_u24_e32 v35, 17, v35
	v_and_b32_e32 v36, 0xffff, v0
	v_or_b32_e32 v0, v19, v20
	v_mad_u16 v19, 0x78, v28, v21
	v_mad_u16 v20, 0x78, v29, v22
	;; [unrolled: 1-line block ×4, first 2 shown]
	v_lshlrev_b32_e32 v34, 3, v36
	v_mad_u16 v22, 0x78, v33, v24
	v_mad_u16 v24, 0x78, v37, v26
	;; [unrolled: 1-line block ×10, first 2 shown]
	v_and_b32_e32 v0, 0xffff, v0
	v_and_b32_e32 v19, 0xffff, v19
	v_add3_u32 v27, 0, v27, v34
	v_and_b32_e32 v20, 0xffff, v20
	v_and_b32_e32 v21, 0xffff, v21
	;; [unrolled: 1-line block ×14, first 2 shown]
	v_lshl_add_u32 v0, v0, 3, 0
	v_lshl_add_u32 v19, v19, 3, 0
	;; [unrolled: 1-line block ×3, first 2 shown]
	v_add_nc_u32_e32 v55, 0x400, v27
	v_lshl_add_u32 v21, v21, 3, 0
	v_add_nc_u32_e32 v56, 0x3400, v27
	v_lshl_add_u32 v22, v22, 3, 0
	v_lshl_add_u32 v33, v33, 3, 0
	;; [unrolled: 1-line block ×12, first 2 shown]
	s_waitcnt vmcnt(16)
	ds_write_b64 v0, v[5:6]
	s_waitcnt vmcnt(15)
	ds_write_b64 v19, v[7:8]
	;; [unrolled: 2-line block ×17, first 2 shown]
	s_waitcnt lgkmcnt(0)
	s_barrier
	buffer_gl0_inv
	ds_read2_b64 v[4:7], v27 offset1:120
	ds_read_b64 v[33:34], v27 offset:15360
	ds_read2_b64 v[12:15], v55 offset0:112 offset1:232
	ds_read2_b64 v[8:11], v56 offset0:16 offset1:136
	v_add_nc_u32_e32 v0, 0x1400, v27
	v_add_nc_u32_e32 v1, 0x2400, v27
	;; [unrolled: 1-line block ×3, first 2 shown]
	ds_read2_b64 v[16:19], v0 offset0:80 offset1:200
	ds_read2_b64 v[20:23], v1 offset0:48 offset1:168
	v_add_nc_u32_e32 v0, 0x1c00, v27
	v_add_nc_u32_e32 v28, 0x2c00, v27
	ds_read2_b64 v[24:27], v2 offset0:96 offset1:216
	ds_read2_b64 v[0:3], v0 offset0:64 offset1:184
	ds_read2_b64 v[28:31], v28 offset0:32 offset1:152
	s_waitcnt lgkmcnt(8)
	v_add_f32_e32 v55, v4, v6
	v_add_f32_e32 v56, v5, v7
	s_waitcnt lgkmcnt(7)
	v_sub_f32_e32 v54, v7, v34
	s_waitcnt lgkmcnt(5)
	v_add_f32_e32 v38, v10, v12
	v_add_f32_e32 v39, v11, v13
	v_sub_f32_e32 v43, v12, v10
	v_sub_f32_e32 v44, v13, v11
	v_add_f32_e32 v12, v55, v12
	v_add_f32_e32 v13, v56, v13
	v_add_f32_e32 v7, v34, v7
	v_add_f32_e32 v51, v33, v6
	v_add_f32_e32 v37, v8, v14
	v_add_f32_e32 v12, v12, v14
	v_add_f32_e32 v13, v13, v15
	v_add_f32_e32 v41, v9, v15
	v_sub_f32_e32 v40, v14, v8
	v_sub_f32_e32 v42, v15, v9
	s_waitcnt lgkmcnt(2)
	v_add_f32_e32 v12, v12, v24
	v_add_f32_e32 v13, v13, v25
	v_sub_f32_e32 v50, v17, v23
	v_add_f32_e32 v49, v23, v17
	v_add_f32_e32 v47, v22, v16
	;; [unrolled: 1-line block ×4, first 2 shown]
	v_sub_f32_e32 v48, v16, v22
	s_waitcnt lgkmcnt(0)
	v_add_f32_e32 v62, v30, v24
	v_add_f32_e32 v63, v31, v25
	;; [unrolled: 1-line block ×4, first 2 shown]
	v_sub_f32_e32 v61, v24, v30
	v_sub_f32_e32 v64, v25, v31
	v_add_f32_e32 v57, v28, v26
	v_add_f32_e32 v12, v12, v18
	;; [unrolled: 1-line block ×4, first 2 shown]
	v_sub_f32_e32 v58, v26, v28
	v_sub_f32_e32 v60, v27, v29
	v_add_f32_e32 v12, v12, v0
	v_add_f32_e32 v13, v13, v1
	v_sub_f32_e32 v6, v6, v33
	v_mul_f32_e32 v55, 0xbeb8f4ab, v54
	v_mul_f32_e32 v56, 0xbf2c7751, v54
	v_add_f32_e32 v12, v12, v2
	v_add_f32_e32 v13, v13, v3
	v_mul_f32_e32 v65, 0xbf65296c, v54
	v_mul_f32_e32 v66, 0xbf7ee86f, v54
	v_mul_f32_e32 v14, 0xbf763a35, v54
	v_add_f32_e32 v12, v12, v20
	v_add_f32_e32 v13, v13, v21
	v_mul_f32_e32 v15, 0xbf4c4adb, v54
	;; [unrolled: 5-line block ×4, first 2 shown]
	v_mul_f32_e32 v68, 0xbe8c1d8e, v7
	v_mul_f32_e32 v16, 0xbf1a4643, v7
	;; [unrolled: 1-line block ×4, first 2 shown]
	v_add_f32_e32 v12, v12, v30
	v_add_f32_e32 v13, v13, v31
	v_sub_f32_e32 v52, v19, v21
	v_add_f32_e32 v45, v20, v18
	v_add_f32_e32 v53, v21, v19
	v_sub_f32_e32 v46, v18, v20
	v_fmamk_f32 v18, v51, 0x3f6eb680, v55
	v_fma_f32 v19, 0x3f6eb680, v51, -v55
	v_fmamk_f32 v55, v51, 0x3f3d2fb0, v56
	v_fma_f32 v56, 0x3f3d2fb0, v51, -v56
	;; [unrolled: 2-line block ×8, first 2 shown]
	v_fmamk_f32 v51, v6, 0x3eb8f4ab, v25
	v_fmac_f32_e32 v25, 0xbeb8f4ab, v6
	v_fmamk_f32 v67, v6, 0x3f2c7751, v54
	v_fmac_f32_e32 v54, 0xbf2c7751, v6
	;; [unrolled: 2-line block ×8, first 2 shown]
	v_add_f32_e32 v6, v12, v8
	v_add_f32_e32 v8, v13, v9
	;; [unrolled: 1-line block ×4, first 2 shown]
	v_mul_f32_e32 v70, 0x3f3d2fb0, v39
	v_add_f32_e32 v6, v6, v10
	v_add_f32_e32 v8, v8, v11
	;; [unrolled: 1-line block ×6, first 2 shown]
	v_mul_f32_e32 v68, 0xbf2c7751, v44
	v_add_f32_e32 v9, v4, v18
	v_add_f32_e32 v12, v5, v51
	;; [unrolled: 1-line block ×28, first 2 shown]
	v_fmamk_f32 v6, v43, 0x3f2c7751, v70
	v_mul_f32_e32 v8, 0xbf7ee86f, v44
	v_fma_f32 v33, 0x3f3d2fb0, v38, -v68
	v_fmac_f32_e32 v70, 0xbf2c7751, v43
	v_mul_f32_e32 v34, 0x3dbcf732, v39
	v_add_f32_e32 v6, v6, v12
	v_fmamk_f32 v12, v38, 0x3dbcf732, v8
	v_add_f32_e32 v10, v33, v10
	v_mul_f32_e32 v33, 0xbf4c4adb, v44
	v_fmamk_f32 v71, v38, 0x3f3d2fb0, v68
	v_add_f32_e32 v11, v70, v11
	v_add_f32_e32 v12, v12, v13
	v_fmamk_f32 v13, v43, 0x3f7ee86f, v34
	v_fma_f32 v8, 0x3dbcf732, v38, -v8
	v_fmac_f32_e32 v34, 0xbf7ee86f, v43
	v_fmamk_f32 v68, v38, 0xbf1a4643, v33
	v_mul_f32_e32 v70, 0xbf1a4643, v39
	v_add_f32_e32 v13, v13, v18
	v_add_f32_e32 v8, v8, v19
	;; [unrolled: 1-line block ×4, first 2 shown]
	v_fmamk_f32 v25, v43, 0x3f4c4adb, v70
	v_mul_f32_e32 v34, 0xbe3c28d5, v44
	v_fma_f32 v33, 0xbf1a4643, v38, -v33
	v_mul_f32_e32 v51, 0xbf7ba420, v39
	v_mul_f32_e32 v68, 0x3f06c442, v44
	v_add_f32_e32 v25, v25, v28
	v_fmamk_f32 v28, v38, 0xbf7ba420, v34
	v_add_f32_e32 v33, v33, v54
	v_fmamk_f32 v54, v43, 0x3e3c28d5, v51
	v_fmac_f32_e32 v70, 0xbf4c4adb, v43
	v_fma_f32 v34, 0xbf7ba420, v38, -v34
	v_add_f32_e32 v28, v28, v55
	v_fmac_f32_e32 v51, 0xbe3c28d5, v43
	v_add_f32_e32 v29, v54, v29
	v_fmamk_f32 v54, v38, 0xbf59a7d5, v68
	v_mul_f32_e32 v55, 0xbf59a7d5, v39
	v_add_f32_e32 v26, v70, v26
	v_add_f32_e32 v34, v34, v56
	;; [unrolled: 1-line block ×3, first 2 shown]
	v_mul_f32_e32 v51, 0x3f763a35, v44
	v_add_f32_e32 v54, v54, v65
	v_fmamk_f32 v56, v43, 0xbf06c442, v55
	v_fma_f32 v65, 0xbf59a7d5, v38, -v68
	v_fmac_f32_e32 v55, 0x3f06c442, v43
	v_mul_f32_e32 v70, 0xbe8c1d8e, v39
	v_fmamk_f32 v68, v38, 0xbe8c1d8e, v51
	v_add_f32_e32 v30, v56, v30
	v_add_f32_e32 v14, v65, v14
	;; [unrolled: 1-line block ×3, first 2 shown]
	v_fmamk_f32 v56, v43, 0xbf763a35, v70
	v_fma_f32 v51, 0xbe8c1d8e, v38, -v51
	v_mul_f32_e32 v65, 0x3f65296c, v44
	v_mul_f32_e32 v66, 0x3ee437d1, v39
	;; [unrolled: 1-line block ×3, first 2 shown]
	v_add_f32_e32 v31, v56, v31
	v_add_f32_e32 v15, v51, v15
	v_fmamk_f32 v51, v38, 0x3ee437d1, v65
	v_fmamk_f32 v56, v43, 0xbf65296c, v66
	v_mul_f32_e32 v39, 0x3f6eb680, v39
	v_fmac_f32_e32 v70, 0x3f763a35, v43
	v_fma_f32 v65, 0x3ee437d1, v38, -v65
	v_add_f32_e32 v21, v51, v21
	v_add_f32_e32 v51, v56, v67
	v_fmamk_f32 v56, v38, 0x3f6eb680, v44
	v_fmac_f32_e32 v66, 0x3f65296c, v43
	v_fma_f32 v38, 0x3f6eb680, v38, -v44
	v_fmamk_f32 v44, v43, 0xbeb8f4ab, v39
	v_fmac_f32_e32 v39, 0x3eb8f4ab, v43
	v_mul_f32_e32 v43, 0xbf65296c, v42
	v_add_f32_e32 v23, v56, v23
	v_mul_f32_e32 v56, 0x3ee437d1, v41
	v_add_f32_e32 v9, v71, v9
	v_add_f32_e32 v22, v65, v22
	v_fmamk_f32 v65, v37, 0x3ee437d1, v43
	v_add_f32_e32 v24, v38, v24
	v_add_f32_e32 v7, v39, v7
	v_fmamk_f32 v38, v40, 0x3f65296c, v56
	v_mul_f32_e32 v39, 0xbf4c4adb, v42
	v_fma_f32 v43, 0x3ee437d1, v37, -v43
	v_add_f32_e32 v9, v65, v9
	v_fmac_f32_e32 v56, 0xbf65296c, v40
	v_add_f32_e32 v6, v38, v6
	v_fmamk_f32 v38, v37, 0xbf1a4643, v39
	v_mul_f32_e32 v65, 0xbf1a4643, v41
	v_add_f32_e32 v10, v43, v10
	v_mul_f32_e32 v43, 0x3e3c28d5, v42
	v_add_f32_e32 v17, v66, v17
	v_add_f32_e32 v11, v56, v11
	;; [unrolled: 1-line block ×3, first 2 shown]
	v_fmamk_f32 v38, v40, 0x3f4c4adb, v65
	v_fma_f32 v39, 0xbf1a4643, v37, -v39
	v_fmamk_f32 v56, v37, 0xbf7ba420, v43
	v_mul_f32_e32 v66, 0xbf7ba420, v41
	v_fmac_f32_e32 v65, 0xbf4c4adb, v40
	v_add_f32_e32 v13, v38, v13
	v_add_f32_e32 v8, v39, v8
	;; [unrolled: 1-line block ×3, first 2 shown]
	v_fmamk_f32 v38, v40, 0xbe3c28d5, v66
	v_mul_f32_e32 v39, 0x3f763a35, v42
	v_fma_f32 v43, 0xbf7ba420, v37, -v43
	v_mul_f32_e32 v56, 0xbe8c1d8e, v41
	v_add_f32_e32 v18, v65, v18
	v_add_f32_e32 v25, v38, v25
	v_fmamk_f32 v38, v37, 0xbe8c1d8e, v39
	v_add_f32_e32 v33, v43, v33
	v_fmamk_f32 v43, v40, 0xbf763a35, v56
	v_mul_f32_e32 v65, 0x3f2c7751, v42
	v_fmac_f32_e32 v66, 0x3e3c28d5, v40
	v_add_f32_e32 v28, v38, v28
	v_fma_f32 v38, 0xbe8c1d8e, v37, -v39
	v_fmac_f32_e32 v56, 0x3f763a35, v40
	v_add_f32_e32 v29, v43, v29
	v_fmamk_f32 v39, v37, 0x3f3d2fb0, v65
	v_mul_f32_e32 v43, 0x3f3d2fb0, v41
	v_add_f32_e32 v26, v66, v26
	v_add_f32_e32 v34, v38, v34
	;; [unrolled: 1-line block ×3, first 2 shown]
	v_mul_f32_e32 v38, 0xbeb8f4ab, v42
	v_add_f32_e32 v39, v39, v54
	v_fmamk_f32 v54, v40, 0xbf2c7751, v43
	v_fma_f32 v56, 0x3f3d2fb0, v37, -v65
	v_fmac_f32_e32 v43, 0x3f2c7751, v40
	v_mul_f32_e32 v66, 0x3f6eb680, v41
	v_fmamk_f32 v65, v37, 0x3f6eb680, v38
	v_add_f32_e32 v30, v54, v30
	v_add_f32_e32 v14, v56, v14
	;; [unrolled: 1-line block ×3, first 2 shown]
	v_fmamk_f32 v54, v40, 0x3eb8f4ab, v66
	v_fma_f32 v38, 0x3f6eb680, v37, -v38
	v_mul_f32_e32 v55, 0xbf7ee86f, v42
	v_mul_f32_e32 v56, 0x3dbcf732, v41
	;; [unrolled: 1-line block ×3, first 2 shown]
	v_add_f32_e32 v31, v54, v31
	v_add_f32_e32 v15, v38, v15
	v_fmamk_f32 v38, v37, 0x3dbcf732, v55
	v_fmamk_f32 v54, v40, 0x3f7ee86f, v56
	v_mul_f32_e32 v41, 0xbf59a7d5, v41
	v_add_f32_e32 v44, v44, v69
	v_fmac_f32_e32 v66, 0xbeb8f4ab, v40
	v_fma_f32 v55, 0x3dbcf732, v37, -v55
	v_add_f32_e32 v21, v38, v21
	v_add_f32_e32 v38, v54, v51
	v_fmamk_f32 v51, v37, 0xbf59a7d5, v42
	v_fmac_f32_e32 v56, 0xbf7ee86f, v40
	v_fma_f32 v37, 0xbf59a7d5, v37, -v42
	v_fmamk_f32 v42, v40, 0x3f06c442, v41
	v_fmac_f32_e32 v41, 0xbf06c442, v40
	v_mul_f32_e32 v40, 0xbf7ee86f, v64
	v_add_f32_e32 v23, v51, v23
	v_add_f32_e32 v24, v37, v24
	;; [unrolled: 1-line block ×3, first 2 shown]
	v_mul_f32_e32 v44, 0x3dbcf732, v63
	v_fmamk_f32 v51, v62, 0x3dbcf732, v40
	v_mul_f32_e32 v37, 0xbe3c28d5, v64
	v_add_f32_e32 v7, v41, v7
	v_fma_f32 v40, 0x3dbcf732, v62, -v40
	v_fmamk_f32 v41, v61, 0x3f7ee86f, v44
	v_add_f32_e32 v9, v51, v9
	v_fmamk_f32 v51, v62, 0xbf7ba420, v37
	v_fmac_f32_e32 v44, 0xbf7ee86f, v61
	v_fma_f32 v37, 0xbf7ba420, v62, -v37
	v_add_f32_e32 v6, v41, v6
	v_mul_f32_e32 v41, 0xbf7ba420, v63
	v_add_f32_e32 v12, v51, v12
	v_mul_f32_e32 v51, 0xbe8c1d8e, v63
	v_add_f32_e32 v10, v40, v10
	v_add_f32_e32 v11, v44, v11
	v_mul_f32_e32 v40, 0x3f763a35, v64
	v_fmamk_f32 v44, v61, 0x3e3c28d5, v41
	v_fmac_f32_e32 v41, 0xbe3c28d5, v61
	v_add_f32_e32 v8, v37, v8
	v_fmamk_f32 v37, v61, 0xbf763a35, v51
	v_fmamk_f32 v54, v62, 0xbe8c1d8e, v40
	v_fma_f32 v40, 0xbe8c1d8e, v62, -v40
	v_add_f32_e32 v18, v41, v18
	v_mul_f32_e32 v41, 0x3eb8f4ab, v64
	v_fmac_f32_e32 v51, 0x3f763a35, v61
	v_add_f32_e32 v25, v37, v25
	v_mul_f32_e32 v37, 0x3f6eb680, v63
	v_add_f32_e32 v13, v44, v13
	v_fmamk_f32 v44, v62, 0x3f6eb680, v41
	v_add_f32_e32 v33, v40, v33
	v_add_f32_e32 v26, v51, v26
	v_mul_f32_e32 v40, 0xbf65296c, v64
	v_fmamk_f32 v51, v61, 0xbeb8f4ab, v37
	v_add_f32_e32 v28, v44, v28
	v_fma_f32 v41, 0x3f6eb680, v62, -v41
	v_fmac_f32_e32 v37, 0x3eb8f4ab, v61
	v_fmamk_f32 v44, v62, 0x3ee437d1, v40
	v_add_f32_e32 v29, v51, v29
	v_mul_f32_e32 v51, 0x3ee437d1, v63
	v_add_f32_e32 v16, v70, v16
	v_add_f32_e32 v34, v41, v34
	;; [unrolled: 1-line block ×4, first 2 shown]
	v_mul_f32_e32 v39, 0xbf06c442, v64
	v_fmamk_f32 v41, v61, 0x3f65296c, v51
	v_fma_f32 v40, 0x3ee437d1, v62, -v40
	v_fmac_f32_e32 v51, 0xbf65296c, v61
	v_mul_f32_e32 v44, 0xbf59a7d5, v63
	v_add_f32_e32 v16, v66, v16
	v_add_f32_e32 v19, v54, v19
	v_fmamk_f32 v54, v62, 0xbf59a7d5, v39
	v_add_f32_e32 v30, v41, v30
	v_add_f32_e32 v14, v40, v14
	;; [unrolled: 1-line block ×3, first 2 shown]
	v_fmamk_f32 v41, v61, 0x3f06c442, v44
	v_fma_f32 v39, 0xbf59a7d5, v62, -v39
	v_mul_f32_e32 v43, 0x3f4c4adb, v64
	v_mul_f32_e32 v51, 0xbf1a4643, v63
	v_fmac_f32_e32 v44, 0xbf06c442, v61
	v_add_f32_e32 v20, v68, v20
	v_add_f32_e32 v22, v55, v22
	;; [unrolled: 1-line block ×4, first 2 shown]
	v_fmamk_f32 v39, v62, 0xbf1a4643, v43
	v_fmamk_f32 v41, v61, 0xbf4c4adb, v51
	v_fma_f32 v43, 0xbf1a4643, v62, -v43
	v_add_f32_e32 v16, v44, v16
	v_mul_f32_e32 v44, 0x3f2c7751, v64
	v_add_f32_e32 v20, v65, v20
	v_add_f32_e32 v17, v56, v17
	;; [unrolled: 1-line block ×5, first 2 shown]
	v_mul_f32_e32 v39, 0x3f3d2fb0, v63
	v_fmamk_f32 v41, v62, 0x3f3d2fb0, v44
	v_fmac_f32_e32 v51, 0x3f4c4adb, v61
	v_fma_f32 v43, 0x3f3d2fb0, v62, -v44
	v_mul_f32_e32 v44, 0xbf763a35, v60
	v_add_f32_e32 v20, v54, v20
	v_fmamk_f32 v54, v61, 0xbf2c7751, v39
	v_fmac_f32_e32 v39, 0x3f2c7751, v61
	v_add_f32_e32 v17, v51, v17
	v_add_f32_e32 v23, v41, v23
	v_fmamk_f32 v41, v57, 0xbe8c1d8e, v44
	v_mul_f32_e32 v51, 0xbe8c1d8e, v59
	v_add_f32_e32 v24, v43, v24
	v_add_f32_e32 v7, v39, v7
	v_fma_f32 v43, 0xbe8c1d8e, v57, -v44
	v_add_f32_e32 v9, v41, v9
	v_fmamk_f32 v39, v58, 0x3f763a35, v51
	v_mul_f32_e32 v41, 0x3f06c442, v60
	v_fmac_f32_e32 v51, 0xbf763a35, v58
	v_mul_f32_e32 v44, 0xbf59a7d5, v59
	v_add_f32_e32 v10, v43, v10
	v_add_f32_e32 v6, v39, v6
	v_fmamk_f32 v39, v57, 0xbf59a7d5, v41
	v_add_f32_e32 v11, v51, v11
	v_fmamk_f32 v43, v58, 0xbf06c442, v44
	v_mul_f32_e32 v51, 0x3f2c7751, v60
	v_fmac_f32_e32 v44, 0x3f06c442, v58
	v_add_f32_e32 v12, v39, v12
	v_fma_f32 v39, 0xbf59a7d5, v57, -v41
	v_add_f32_e32 v13, v43, v13
	v_fmamk_f32 v41, v57, 0x3f3d2fb0, v51
	v_mul_f32_e32 v43, 0x3f3d2fb0, v59
	v_add_f32_e32 v42, v54, v42
	v_add_f32_e32 v8, v39, v8
	v_add_f32_e32 v18, v44, v18
	v_mul_f32_e32 v39, 0xbf65296c, v60
	v_add_f32_e32 v19, v41, v19
	v_fmamk_f32 v41, v58, 0xbf2c7751, v43
	v_fma_f32 v44, 0x3f3d2fb0, v57, -v51
	v_fmac_f32_e32 v43, 0x3f2c7751, v58
	v_mul_f32_e32 v54, 0x3ee437d1, v59
	v_fmamk_f32 v51, v57, 0x3ee437d1, v39
	v_add_f32_e32 v25, v41, v25
	v_add_f32_e32 v33, v44, v33
	v_add_f32_e32 v26, v43, v26
	v_fmamk_f32 v41, v58, 0x3f65296c, v54
	v_mul_f32_e32 v43, 0xbe3c28d5, v60
	v_fma_f32 v39, 0x3ee437d1, v57, -v39
	v_mul_f32_e32 v44, 0xbf7ba420, v59
	v_add_f32_e32 v28, v51, v28
	v_add_f32_e32 v29, v41, v29
	v_fmamk_f32 v41, v57, 0xbf7ba420, v43
	v_add_f32_e32 v34, v39, v34
	v_fmamk_f32 v39, v58, 0x3e3c28d5, v44
	v_mul_f32_e32 v51, 0x3f7ee86f, v60
	v_fmac_f32_e32 v54, 0xbf65296c, v58
	v_add_f32_e32 v37, v41, v37
	v_fma_f32 v41, 0xbf7ba420, v57, -v43
	v_fmac_f32_e32 v44, 0xbe3c28d5, v58
	v_add_f32_e32 v30, v39, v30
	v_fmamk_f32 v39, v57, 0x3dbcf732, v51
	v_mul_f32_e32 v43, 0x3dbcf732, v59
	v_add_f32_e32 v27, v54, v27
	v_add_f32_e32 v14, v41, v14
	v_add_f32_e32 v40, v44, v40
	v_mul_f32_e32 v41, 0xbeb8f4ab, v60
	v_add_f32_e32 v20, v39, v20
	v_fmamk_f32 v39, v58, 0xbf7ee86f, v43
	v_fma_f32 v44, 0x3dbcf732, v57, -v51
	v_fmac_f32_e32 v43, 0x3f7ee86f, v58
	v_mul_f32_e32 v54, 0x3f6eb680, v59
	v_fmamk_f32 v51, v57, 0x3f6eb680, v41
	v_add_f32_e32 v31, v39, v31
	v_add_f32_e32 v15, v44, v15
	v_add_f32_e32 v16, v43, v16
	v_fmamk_f32 v39, v58, 0x3eb8f4ab, v54
	v_mul_f32_e32 v43, 0xbf4c4adb, v60
	v_fma_f32 v41, 0x3f6eb680, v57, -v41
	v_mul_f32_e32 v44, 0xbf1a4643, v59
	v_add_f32_e32 v21, v51, v21
	v_add_f32_e32 v38, v39, v38
	v_fmamk_f32 v39, v57, 0xbf1a4643, v43
	v_add_f32_e32 v22, v41, v22
	v_fmamk_f32 v41, v58, 0x3f4c4adb, v44
	v_mul_f32_e32 v51, 0xbf4c4adb, v50
	v_fmac_f32_e32 v54, 0xbeb8f4ab, v58
	v_add_f32_e32 v23, v39, v23
	v_fma_f32 v39, 0xbf1a4643, v57, -v43
	v_fmac_f32_e32 v44, 0xbf4c4adb, v58
	;; [unrolled: 30-line block ×3, first 2 shown]
	v_add_f32_e32 v25, v39, v25
	v_fmamk_f32 v39, v47, 0xbf59a7d5, v51
	v_mul_f32_e32 v43, 0xbf59a7d5, v49
	v_add_f32_e32 v18, v54, v18
	v_add_f32_e32 v33, v42, v33
	v_add_f32_e32 v26, v44, v26
	v_mul_f32_e32 v42, 0x3f7ee86f, v50
	v_add_f32_e32 v28, v39, v28
	v_fmamk_f32 v39, v48, 0x3f06c442, v43
	v_fma_f32 v44, 0xbf59a7d5, v47, -v51
	v_fmac_f32_e32 v43, 0xbf06c442, v48
	v_mul_f32_e32 v54, 0x3dbcf732, v49
	v_fmamk_f32 v51, v47, 0x3dbcf732, v42
	v_add_f32_e32 v29, v39, v29
	v_add_f32_e32 v34, v44, v34
	;; [unrolled: 1-line block ×3, first 2 shown]
	v_fmamk_f32 v39, v48, 0xbf7ee86f, v54
	v_mul_f32_e32 v43, 0xbf2c7751, v50
	v_fma_f32 v42, 0x3dbcf732, v47, -v42
	v_mul_f32_e32 v44, 0x3f3d2fb0, v49
	v_add_f32_e32 v37, v51, v37
	v_add_f32_e32 v30, v39, v30
	v_fmamk_f32 v39, v47, 0x3f3d2fb0, v43
	v_add_f32_e32 v14, v42, v14
	v_fmamk_f32 v42, v48, 0x3f2c7751, v44
	v_mul_f32_e32 v51, 0xbe3c28d5, v50
	v_fmac_f32_e32 v44, 0xbf2c7751, v48
	v_add_f32_e32 v20, v39, v20
	v_fma_f32 v39, 0x3f3d2fb0, v47, -v43
	v_add_f32_e32 v31, v42, v31
	v_fmamk_f32 v42, v47, 0xbf7ba420, v51
	v_mul_f32_e32 v43, 0xbf7ba420, v49
	v_add_f32_e32 v16, v44, v16
	v_add_f32_e32 v15, v39, v15
	v_fma_f32 v44, 0xbf7ba420, v47, -v51
	v_add_f32_e32 v21, v42, v21
	v_fmamk_f32 v39, v48, 0x3e3c28d5, v43
	v_mul_f32_e32 v42, 0x3f65296c, v50
	v_fmac_f32_e32 v43, 0xbe3c28d5, v48
	v_mul_f32_e32 v49, 0x3ee437d1, v49
	v_add_f32_e32 v22, v44, v22
	v_add_f32_e32 v38, v39, v38
	v_fmamk_f32 v39, v47, 0x3ee437d1, v42
	v_add_f32_e32 v17, v43, v17
	v_fmamk_f32 v43, v48, 0xbf65296c, v49
	v_fma_f32 v42, 0x3ee437d1, v47, -v42
	v_mul_f32_e32 v44, 0xbf59a7d5, v53
	v_add_f32_e32 v23, v39, v23
	v_mul_f32_e32 v39, 0xbf06c442, v52
	v_add_f32_e32 v41, v43, v41
	v_add_f32_e32 v24, v42, v24
	v_fmamk_f32 v42, v46, 0x3f06c442, v44
	v_mul_f32_e32 v43, 0x3f65296c, v52
	v_fmamk_f32 v47, v45, 0xbf59a7d5, v39
	v_fma_f32 v39, 0xbf59a7d5, v45, -v39
	v_fmac_f32_e32 v44, 0xbf06c442, v46
	v_add_f32_e32 v6, v42, v6
	v_mul_f32_e32 v42, 0x3ee437d1, v53
	v_add_f32_e32 v9, v47, v9
	v_fmamk_f32 v47, v45, 0x3ee437d1, v43
	v_add_f32_e32 v10, v39, v10
	v_mul_f32_e32 v39, 0xbf7ee86f, v52
	v_add_f32_e32 v11, v44, v11
	v_fmamk_f32 v44, v46, 0xbf65296c, v42
	v_add_f32_e32 v12, v47, v12
	v_fma_f32 v43, 0x3ee437d1, v45, -v43
	v_fmamk_f32 v47, v45, 0x3dbcf732, v39
	v_fmac_f32_e32 v42, 0x3f65296c, v46
	v_add_f32_e32 v13, v44, v13
	v_mul_f32_e32 v44, 0x3dbcf732, v53
	v_fma_f32 v39, 0x3dbcf732, v45, -v39
	v_add_f32_e32 v19, v47, v19
	v_mul_f32_e32 v47, 0xbf1a4643, v53
	v_add_f32_e32 v8, v43, v8
	v_add_f32_e32 v18, v42, v18
	v_mul_f32_e32 v42, 0x3f4c4adb, v52
	v_fmamk_f32 v43, v46, 0x3f7ee86f, v44
	v_add_f32_e32 v33, v39, v33
	v_fmamk_f32 v39, v46, 0xbf4c4adb, v47
	v_fmac_f32_e32 v54, 0x3f7ee86f, v48
	v_fmac_f32_e32 v49, 0x3f65296c, v48
	;; [unrolled: 1-line block ×3, first 2 shown]
	v_fmamk_f32 v48, v45, 0xbf1a4643, v42
	v_add_f32_e32 v25, v43, v25
	v_mul_f32_e32 v43, 0xbeb8f4ab, v52
	v_fma_f32 v42, 0xbf1a4643, v45, -v42
	v_fmac_f32_e32 v47, 0x3f4c4adb, v46
	v_add_f32_e32 v29, v39, v29
	v_mul_f32_e32 v39, 0x3f6eb680, v53
	v_add_f32_e32 v26, v44, v26
	v_fmamk_f32 v44, v45, 0x3f6eb680, v43
	v_add_f32_e32 v34, v42, v34
	v_add_f32_e32 v27, v47, v27
	v_mul_f32_e32 v42, 0xbe3c28d5, v52
	v_fmamk_f32 v47, v46, 0x3eb8f4ab, v39
	v_add_f32_e32 v40, v54, v40
	v_add_f32_e32 v37, v44, v37
	v_fma_f32 v43, 0x3f6eb680, v45, -v43
	v_fmac_f32_e32 v39, 0xbeb8f4ab, v46
	v_fmamk_f32 v44, v45, 0xbf7ba420, v42
	v_add_f32_e32 v30, v47, v30
	v_mul_f32_e32 v47, 0xbf7ba420, v53
	v_add_f32_e32 v43, v43, v14
	v_add_f32_e32 v39, v39, v40
	;; [unrolled: 1-line block ×3, first 2 shown]
	v_mul_f32_e32 v14, 0x3f2c7751, v52
	v_fmamk_f32 v20, v46, 0x3e3c28d5, v47
	v_fma_f32 v42, 0xbf7ba420, v45, -v42
	v_fmac_f32_e32 v47, 0xbe3c28d5, v46
	v_mul_f32_e32 v44, 0x3f3d2fb0, v53
	v_add_f32_e32 v28, v48, v28
	v_fmamk_f32 v48, v45, 0x3f3d2fb0, v14
	v_add_f32_e32 v31, v20, v31
	v_add_f32_e32 v42, v42, v15
	;; [unrolled: 1-line block ×3, first 2 shown]
	v_fmamk_f32 v15, v46, 0xbf2c7751, v44
	v_mul_f32_e32 v16, 0xbf763a35, v52
	v_mul_f32_e32 v20, 0xbe8c1d8e, v53
	v_fma_f32 v14, 0x3f3d2fb0, v45, -v14
	v_sub_f32_e32 v50, v1, v3
	v_add_f32_e32 v53, v3, v1
	v_add_f32_e32 v7, v49, v7
	;; [unrolled: 1-line block ×4, first 2 shown]
	v_fmamk_f32 v15, v45, 0xbe8c1d8e, v16
	v_fmamk_f32 v21, v46, 0x3f763a35, v20
	v_add_f32_e32 v49, v14, v22
	v_add_f32_e32 v52, v2, v0
	v_mul_f32_e32 v14, 0xbe3c28d5, v50
	v_fma_f32 v1, 0xbe8c1d8e, v45, -v16
	v_fmac_f32_e32 v20, 0xbf763a35, v46
	v_sub_f32_e32 v45, v0, v2
	v_mul_f32_e32 v3, 0xbf7ba420, v53
	v_fmac_f32_e32 v44, 0x3f2c7751, v46
	v_fmamk_f32 v0, v52, 0xbf7ba420, v14
	v_add_f32_e32 v46, v1, v24
	v_add_f32_e32 v54, v20, v7
	v_mul_f32_e32 v7, 0x3eb8f4ab, v50
	v_fmamk_f32 v1, v45, 0x3e3c28d5, v3
	v_fmac_f32_e32 v3, 0xbe3c28d5, v45
	v_add_f32_e32 v0, v0, v9
	v_fma_f32 v2, 0xbf7ba420, v52, -v14
	v_fmamk_f32 v9, v52, 0x3f6eb680, v7
	v_mul_f32_e32 v14, 0x3f6eb680, v53
	v_add_f32_e32 v3, v3, v11
	v_mul_f32_e32 v11, 0xbf06c442, v50
	v_add_f32_e32 v51, v15, v23
	v_add_f32_e32 v1, v1, v6
	;; [unrolled: 1-line block ×4, first 2 shown]
	v_fmamk_f32 v9, v45, 0xbeb8f4ab, v14
	v_fma_f32 v10, 0x3f6eb680, v52, -v7
	v_fmac_f32_e32 v14, 0x3eb8f4ab, v45
	v_mul_f32_e32 v15, 0xbf59a7d5, v53
	v_fmamk_f32 v12, v52, 0xbf59a7d5, v11
	v_mul_f32_e32 v16, 0x3f2c7751, v50
	v_add_f32_e32 v44, v44, v17
	v_add_f32_e32 v41, v21, v41
	;; [unrolled: 1-line block ×5, first 2 shown]
	v_fmamk_f32 v13, v45, 0x3f06c442, v15
	v_add_f32_e32 v10, v12, v19
	v_fmac_f32_e32 v15, 0xbf06c442, v45
	v_fmamk_f32 v14, v52, 0x3f3d2fb0, v16
	v_mul_f32_e32 v17, 0x3f3d2fb0, v53
	v_mul_f32_e32 v19, 0xbf4c4adb, v50
	;; [unrolled: 1-line block ×4, first 2 shown]
	v_fma_f32 v12, 0xbf59a7d5, v52, -v11
	v_add_f32_e32 v11, v13, v25
	v_add_f32_e32 v13, v15, v26
	;; [unrolled: 1-line block ×3, first 2 shown]
	v_fmamk_f32 v15, v45, 0xbf2c7751, v17
	v_fmamk_f32 v20, v45, 0x3f4c4adb, v21
	v_fma_f32 v23, 0xbf1a4643, v52, -v19
	v_mul_f32_e32 v25, 0x3ee437d1, v53
	v_mul_f32_e32 v28, 0xbf763a35, v50
	v_fmac_f32_e32 v17, 0x3f2c7751, v45
	v_fmamk_f32 v24, v52, 0x3ee437d1, v22
	v_fma_f32 v26, 0x3ee437d1, v52, -v22
	v_fmamk_f32 v18, v52, 0xbf1a4643, v19
	v_add_f32_e32 v15, v15, v29
	v_add_f32_e32 v19, v20, v30
	;; [unrolled: 1-line block ×3, first 2 shown]
	v_fmamk_f32 v23, v45, 0xbf65296c, v25
	v_mul_f32_e32 v30, 0xbe8c1d8e, v53
	v_fmamk_f32 v29, v52, 0xbe8c1d8e, v28
	v_add_f32_e32 v17, v17, v27
	v_add_f32_e32 v22, v24, v40
	;; [unrolled: 1-line block ×3, first 2 shown]
	v_mad_u64_u32 v[26:27], null, s4, v36, 0
	v_fmac_f32_e32 v21, 0xbf4c4adb, v45
	v_add_f32_e32 v12, v12, v33
	v_fma_f32 v16, 0x3f3d2fb0, v52, -v16
	v_add_f32_e32 v23, v23, v31
	v_fmamk_f32 v31, v45, 0x3f763a35, v30
	v_fma_f32 v33, 0xbe8c1d8e, v52, -v28
	v_add_f32_e32 v28, v29, v48
	v_fmac_f32_e32 v30, 0xbf763a35, v45
	v_add_f32_e32 v18, v18, v37
	v_add_f32_e32 v21, v21, v39
	v_mul_f32_e32 v37, 0x3f7ee86f, v50
	v_mul_f32_e32 v39, 0x3dbcf732, v53
	v_add_f32_e32 v16, v16, v34
	v_add_f32_e32 v29, v31, v38
	;; [unrolled: 1-line block ×3, first 2 shown]
	v_mad_u64_u32 v[30:31], null, s5, v36, v[27:28]
	v_fmamk_f32 v38, v52, 0x3dbcf732, v37
	v_fmamk_f32 v27, v45, 0xbf7ee86f, v39
	v_fma_f32 v31, 0x3dbcf732, v52, -v37
	s_lshl_b64 s[4:5], s[10:11], 3
	v_fmac_f32_e32 v25, 0x3f65296c, v45
	v_add_f32_e32 v36, v38, v51
	v_add_f32_e32 v37, v27, v41
	;; [unrolled: 1-line block ×3, first 2 shown]
	v_mov_b32_e32 v27, v30
	v_mul_lo_u32 v31, v35, s0
	s_add_u32 s1, s6, s4
	s_addc_u32 s4, s7, s5
	s_add_u32 s1, s1, s2
	v_lshlrev_b64 v[26:27], 3, v[26:27]
	s_addc_u32 s2, s4, s3
	v_fmac_f32_e32 v39, 0x3f7ee86f, v45
	v_add_f32_e32 v25, v25, v47
	v_lshlrev_b64 v[40:41], 3, v[31:32]
	v_add_nc_u32_e32 v31, s0, v31
	v_add_co_u32 v30, vcc_lo, s1, v26
	v_add_co_ci_u32_e32 v35, vcc_lo, s2, v27, vcc_lo
	v_lshlrev_b64 v[26:27], 3, v[31:32]
	v_add_nc_u32_e32 v31, s0, v31
	v_add_co_u32 v40, vcc_lo, v30, v40
	v_add_co_ci_u32_e32 v41, vcc_lo, v35, v41, vcc_lo
	;; [unrolled: 4-line block ×5, first 2 shown]
	global_store_dwordx2 v[40:41], v[4:5], off
	global_store_dwordx2 v[26:27], v[0:1], off
	;; [unrolled: 1-line block ×4, first 2 shown]
	v_lshlrev_b64 v[0:1], 3, v[31:32]
	v_add_nc_u32_e32 v31, s0, v31
	v_add_co_u32 v4, vcc_lo, v30, v46
	v_add_co_ci_u32_e32 v5, vcc_lo, v35, v47, vcc_lo
	v_lshlrev_b64 v[6:7], 3, v[31:32]
	v_add_nc_u32_e32 v31, s0, v31
	v_add_co_u32 v0, vcc_lo, v30, v0
	v_add_co_ci_u32_e32 v1, vcc_lo, v35, v1, vcc_lo
	;; [unrolled: 4-line block ×4, first 2 shown]
	global_store_dwordx2 v[4:5], v[14:15], off
	global_store_dwordx2 v[0:1], v[18:19], off
	;; [unrolled: 1-line block ×4, first 2 shown]
	v_lshlrev_b64 v[0:1], 3, v[31:32]
	v_add_nc_u32_e32 v31, s0, v31
	v_add_co_u32 v4, vcc_lo, v30, v26
	v_add_co_ci_u32_e32 v5, vcc_lo, v35, v27, vcc_lo
	v_lshlrev_b64 v[6:7], 3, v[31:32]
	v_add_nc_u32_e32 v31, s0, v31
	v_add_co_u32 v0, vcc_lo, v30, v0
	v_add_co_ci_u32_e32 v1, vcc_lo, v35, v1, vcc_lo
	;; [unrolled: 4-line block ×3, first 2 shown]
	v_lshlrev_b64 v[14:15], 3, v[31:32]
	v_add_nc_u32_e32 v31, s0, v31
	v_add_f32_e32 v39, v39, v54
	v_add_co_u32 v10, vcc_lo, v30, v10
	v_add_f32_e32 v33, v33, v49
	v_add_co_ci_u32_e32 v11, vcc_lo, v35, v11, vcc_lo
	global_store_dwordx2 v[4:5], v[36:37], off
	global_store_dwordx2 v[0:1], v[38:39], off
	;; [unrolled: 1-line block ×4, first 2 shown]
	v_lshlrev_b64 v[0:1], 3, v[31:32]
	v_add_nc_u32_e32 v31, s0, v31
	v_add_co_u32 v4, vcc_lo, v30, v14
	v_add_co_ci_u32_e32 v5, vcc_lo, v35, v15, vcc_lo
	v_lshlrev_b64 v[6:7], 3, v[31:32]
	v_add_nc_u32_e32 v31, s0, v31
	v_add_co_u32 v0, vcc_lo, v30, v0
	v_add_co_ci_u32_e32 v1, vcc_lo, v35, v1, vcc_lo
	;; [unrolled: 4-line block ×3, first 2 shown]
	v_lshlrev_b64 v[14:15], 3, v[31:32]
	v_add_co_u32 v10, vcc_lo, v30, v10
	v_add_co_ci_u32_e32 v11, vcc_lo, v35, v11, vcc_lo
	v_add_co_u32 v14, vcc_lo, v30, v14
	v_add_co_ci_u32_e32 v15, vcc_lo, v35, v15, vcc_lo
	global_store_dwordx2 v[4:5], v[20:21], off
	global_store_dwordx2 v[0:1], v[16:17], off
	;; [unrolled: 1-line block ×5, first 2 shown]
	s_endpgm
	.section	.rodata,"a",@progbits
	.p2align	6, 0x0
	.amdhsa_kernel fft_rtc_back_len17_factors_17_wgs_120_tpt_1_sp_op_CI_CI_sbrc_z_xy_diag_dirReg
		.amdhsa_group_segment_fixed_size 0
		.amdhsa_private_segment_fixed_size 0
		.amdhsa_kernarg_size 104
		.amdhsa_user_sgpr_count 6
		.amdhsa_user_sgpr_private_segment_buffer 1
		.amdhsa_user_sgpr_dispatch_ptr 0
		.amdhsa_user_sgpr_queue_ptr 0
		.amdhsa_user_sgpr_kernarg_segment_ptr 1
		.amdhsa_user_sgpr_dispatch_id 0
		.amdhsa_user_sgpr_flat_scratch_init 0
		.amdhsa_user_sgpr_private_segment_size 0
		.amdhsa_wavefront_size32 1
		.amdhsa_uses_dynamic_stack 0
		.amdhsa_system_sgpr_private_segment_wavefront_offset 0
		.amdhsa_system_sgpr_workgroup_id_x 1
		.amdhsa_system_sgpr_workgroup_id_y 0
		.amdhsa_system_sgpr_workgroup_id_z 0
		.amdhsa_system_sgpr_workgroup_info 0
		.amdhsa_system_vgpr_workitem_id 0
		.amdhsa_next_free_vgpr 76
		.amdhsa_next_free_sgpr 21
		.amdhsa_reserve_vcc 1
		.amdhsa_reserve_flat_scratch 0
		.amdhsa_float_round_mode_32 0
		.amdhsa_float_round_mode_16_64 0
		.amdhsa_float_denorm_mode_32 3
		.amdhsa_float_denorm_mode_16_64 3
		.amdhsa_dx10_clamp 1
		.amdhsa_ieee_mode 1
		.amdhsa_fp16_overflow 0
		.amdhsa_workgroup_processor_mode 1
		.amdhsa_memory_ordered 1
		.amdhsa_forward_progress 0
		.amdhsa_shared_vgpr_count 0
		.amdhsa_exception_fp_ieee_invalid_op 0
		.amdhsa_exception_fp_denorm_src 0
		.amdhsa_exception_fp_ieee_div_zero 0
		.amdhsa_exception_fp_ieee_overflow 0
		.amdhsa_exception_fp_ieee_underflow 0
		.amdhsa_exception_fp_ieee_inexact 0
		.amdhsa_exception_int_div_zero 0
	.end_amdhsa_kernel
	.text
.Lfunc_end0:
	.size	fft_rtc_back_len17_factors_17_wgs_120_tpt_1_sp_op_CI_CI_sbrc_z_xy_diag_dirReg, .Lfunc_end0-fft_rtc_back_len17_factors_17_wgs_120_tpt_1_sp_op_CI_CI_sbrc_z_xy_diag_dirReg
                                        ; -- End function
	.section	.AMDGPU.csdata,"",@progbits
; Kernel info:
; codeLenInByte = 8608
; NumSgprs: 23
; NumVgprs: 76
; ScratchSize: 0
; MemoryBound: 0
; FloatMode: 240
; IeeeMode: 1
; LDSByteSize: 0 bytes/workgroup (compile time only)
; SGPRBlocks: 2
; VGPRBlocks: 9
; NumSGPRsForWavesPerEU: 23
; NumVGPRsForWavesPerEU: 76
; Occupancy: 12
; WaveLimiterHint : 1
; COMPUTE_PGM_RSRC2:SCRATCH_EN: 0
; COMPUTE_PGM_RSRC2:USER_SGPR: 6
; COMPUTE_PGM_RSRC2:TRAP_HANDLER: 0
; COMPUTE_PGM_RSRC2:TGID_X_EN: 1
; COMPUTE_PGM_RSRC2:TGID_Y_EN: 0
; COMPUTE_PGM_RSRC2:TGID_Z_EN: 0
; COMPUTE_PGM_RSRC2:TIDIG_COMP_CNT: 0
	.text
	.p2alignl 6, 3214868480
	.fill 48, 4, 3214868480
	.type	__hip_cuid_3fd7edad2f20dba3,@object ; @__hip_cuid_3fd7edad2f20dba3
	.section	.bss,"aw",@nobits
	.globl	__hip_cuid_3fd7edad2f20dba3
__hip_cuid_3fd7edad2f20dba3:
	.byte	0                               ; 0x0
	.size	__hip_cuid_3fd7edad2f20dba3, 1

	.ident	"AMD clang version 19.0.0git (https://github.com/RadeonOpenCompute/llvm-project roc-6.4.0 25133 c7fe45cf4b819c5991fe208aaa96edf142730f1d)"
	.section	".note.GNU-stack","",@progbits
	.addrsig
	.addrsig_sym __hip_cuid_3fd7edad2f20dba3
	.amdgpu_metadata
---
amdhsa.kernels:
  - .args:
      - .actual_access:  read_only
        .address_space:  global
        .offset:         0
        .size:           8
        .value_kind:     global_buffer
      - .offset:         8
        .size:           8
        .value_kind:     by_value
      - .actual_access:  read_only
        .address_space:  global
        .offset:         16
        .size:           8
        .value_kind:     global_buffer
      - .actual_access:  read_only
        .address_space:  global
        .offset:         24
        .size:           8
        .value_kind:     global_buffer
      - .actual_access:  read_only
        .address_space:  global
        .offset:         32
        .size:           8
        .value_kind:     global_buffer
      - .offset:         40
        .size:           8
        .value_kind:     by_value
      - .actual_access:  read_only
        .address_space:  global
        .offset:         48
        .size:           8
        .value_kind:     global_buffer
      - .actual_access:  read_only
        .address_space:  global
        .offset:         56
        .size:           8
        .value_kind:     global_buffer
      - .offset:         64
        .size:           4
        .value_kind:     by_value
      - .actual_access:  read_only
        .address_space:  global
        .offset:         72
        .size:           8
        .value_kind:     global_buffer
      - .actual_access:  read_only
        .address_space:  global
        .offset:         80
        .size:           8
        .value_kind:     global_buffer
      - .actual_access:  read_only
        .address_space:  global
        .offset:         88
        .size:           8
        .value_kind:     global_buffer
      - .actual_access:  write_only
        .address_space:  global
        .offset:         96
        .size:           8
        .value_kind:     global_buffer
    .group_segment_fixed_size: 0
    .kernarg_segment_align: 8
    .kernarg_segment_size: 104
    .language:       OpenCL C
    .language_version:
      - 2
      - 0
    .max_flat_workgroup_size: 120
    .name:           fft_rtc_back_len17_factors_17_wgs_120_tpt_1_sp_op_CI_CI_sbrc_z_xy_diag_dirReg
    .private_segment_fixed_size: 0
    .sgpr_count:     23
    .sgpr_spill_count: 0
    .symbol:         fft_rtc_back_len17_factors_17_wgs_120_tpt_1_sp_op_CI_CI_sbrc_z_xy_diag_dirReg.kd
    .uniform_work_group_size: 1
    .uses_dynamic_stack: false
    .vgpr_count:     76
    .vgpr_spill_count: 0
    .wavefront_size: 32
    .workgroup_processor_mode: 1
amdhsa.target:   amdgcn-amd-amdhsa--gfx1030
amdhsa.version:
  - 1
  - 2
...

	.end_amdgpu_metadata
